;; amdgpu-corpus repo=ROCm/rocFFT kind=compiled arch=gfx1030 opt=O3
	.text
	.amdgcn_target "amdgcn-amd-amdhsa--gfx1030"
	.amdhsa_code_object_version 6
	.protected	fft_rtc_fwd_len50_factors_10_5_wgs_250_tpt_10_dp_op_CI_CI_sbcc_twdbase8_3step_dirReg_intrinsicReadWrite ; -- Begin function fft_rtc_fwd_len50_factors_10_5_wgs_250_tpt_10_dp_op_CI_CI_sbcc_twdbase8_3step_dirReg_intrinsicReadWrite
	.globl	fft_rtc_fwd_len50_factors_10_5_wgs_250_tpt_10_dp_op_CI_CI_sbcc_twdbase8_3step_dirReg_intrinsicReadWrite
	.p2align	8
	.type	fft_rtc_fwd_len50_factors_10_5_wgs_250_tpt_10_dp_op_CI_CI_sbcc_twdbase8_3step_dirReg_intrinsicReadWrite,@function
fft_rtc_fwd_len50_factors_10_5_wgs_250_tpt_10_dp_op_CI_CI_sbcc_twdbase8_3step_dirReg_intrinsicReadWrite: ; @fft_rtc_fwd_len50_factors_10_5_wgs_250_tpt_10_dp_op_CI_CI_sbcc_twdbase8_3step_dirReg_intrinsicReadWrite
; %bb.0:
	s_clause 0x1
	s_load_dwordx4 s[0:3], s[4:5], 0x18
	s_load_dwordx2 s[30:31], s[4:5], 0x28
	s_mov_b64 s[24:25], 0
	s_waitcnt lgkmcnt(0)
	s_load_dwordx2 s[28:29], s[0:1], 0x8
	s_waitcnt lgkmcnt(0)
	s_add_u32 s7, s28, -1
	s_addc_u32 s8, s29, -1
	s_add_u32 s9, 0, 0xd7093700
	s_addc_u32 s10, 0, 51
	s_mul_hi_u32 s12, s9, 0xffffffe7
	s_add_i32 s10, s10, 0xa3d7070
	s_sub_i32 s12, s12, s9
	s_mul_i32 s14, s10, 0xffffffe7
	s_mul_i32 s11, s9, 0xffffffe7
	s_add_i32 s12, s12, s14
	s_mul_hi_u32 s13, s9, s11
	s_mul_i32 s16, s9, s12
	s_mul_hi_u32 s14, s9, s12
	s_mul_hi_u32 s15, s10, s11
	s_mul_i32 s11, s10, s11
	s_add_u32 s13, s13, s16
	s_addc_u32 s14, 0, s14
	s_mul_hi_u32 s17, s10, s12
	s_add_u32 s11, s13, s11
	s_mul_i32 s12, s10, s12
	s_addc_u32 s11, s14, s15
	s_addc_u32 s13, s17, 0
	s_add_u32 s11, s11, s12
	v_add_co_u32 v1, s9, s9, s11
	s_addc_u32 s11, 0, s13
	s_cmp_lg_u32 s9, 0
	s_addc_u32 s9, s10, s11
	v_readfirstlane_b32 s10, v1
	s_mul_i32 s12, s7, s9
	s_mul_hi_u32 s11, s7, s9
	s_mul_hi_u32 s13, s8, s9
	s_mul_i32 s9, s8, s9
	s_mul_hi_u32 s14, s7, s10
	s_mul_hi_u32 s15, s8, s10
	s_mul_i32 s10, s8, s10
	s_add_u32 s12, s14, s12
	s_addc_u32 s11, 0, s11
	s_add_u32 s10, s12, s10
	s_addc_u32 s10, s11, s15
	s_addc_u32 s11, s13, 0
	s_add_u32 s9, s10, s9
	s_addc_u32 s10, 0, s11
	s_mul_i32 s12, s9, 25
	s_add_u32 s11, s9, 1
	v_sub_co_u32 v1, s7, s7, s12
	s_mul_hi_u32 s12, s9, 25
	s_addc_u32 s13, s10, 0
	s_mul_i32 s14, s10, 25
	v_sub_co_u32 v2, s15, v1, 25
	s_add_u32 s16, s9, 2
	s_addc_u32 s17, s10, 0
	s_add_i32 s12, s12, s14
	s_cmp_lg_u32 s7, 0
	v_readfirstlane_b32 s7, v2
	s_subb_u32 s8, s8, s12
	s_cmp_lg_u32 s15, 0
	s_subb_u32 s12, s8, 0
	s_cmp_gt_u32 s7, 24
	s_cselect_b32 s7, -1, 0
	s_cmp_eq_u32 s12, 0
	v_readfirstlane_b32 s12, v1
	s_cselect_b32 s7, s7, -1
	s_cmp_lg_u32 s7, 0
	s_cselect_b32 s11, s16, s11
	s_cselect_b32 s13, s17, s13
	s_cmp_gt_u32 s12, 24
	s_cselect_b32 s7, -1, 0
	s_cmp_eq_u32 s8, 0
	s_cselect_b32 s7, s7, -1
	s_cmp_lg_u32 s7, 0
	s_mov_b32 s7, 0
	s_cselect_b32 s8, s11, s9
	s_cselect_b32 s9, s13, s10
	s_add_u32 s34, s8, 1
	s_addc_u32 s35, s9, 0
	v_cmp_lt_u64_e64 s8, s[6:7], s[34:35]
	s_and_b32 vcc_lo, exec_lo, s8
	s_cbranch_vccnz .LBB0_2
; %bb.1:
	v_cvt_f32_u32_e32 v1, s34
	s_sub_i32 s9, 0, s34
	s_mov_b32 s25, s7
	v_rcp_iflag_f32_e32 v1, v1
	v_mul_f32_e32 v1, 0x4f7ffffe, v1
	v_cvt_u32_f32_e32 v1, v1
	v_readfirstlane_b32 s8, v1
	s_mul_i32 s9, s9, s8
	s_mul_hi_u32 s9, s8, s9
	s_add_i32 s8, s8, s9
	s_mul_hi_u32 s8, s6, s8
	s_mul_i32 s9, s8, s34
	s_add_i32 s10, s8, 1
	s_sub_i32 s9, s6, s9
	s_sub_i32 s11, s9, s34
	s_cmp_ge_u32 s9, s34
	s_cselect_b32 s8, s10, s8
	s_cselect_b32 s9, s11, s9
	s_add_i32 s10, s8, 1
	s_cmp_ge_u32 s9, s34
	s_cselect_b32 s24, s10, s8
.LBB0_2:
	s_load_dwordx4 s[20:23], s[2:3], 0x0
	s_load_dwordx4 s[8:11], s[30:31], 0x0
	s_clause 0x1
	s_load_dwordx4 s[16:19], s[4:5], 0x8
	s_load_dwordx2 s[26:27], s[4:5], 0x0
	s_waitcnt lgkmcnt(0)
	s_mul_i32 s9, s24, s35
	s_mul_hi_u32 s12, s24, s34
	s_mul_i32 s13, s24, s34
	s_add_i32 s12, s12, s9
	s_sub_u32 s33, s6, s13
	s_subb_u32 s9, 0, s12
	s_load_dwordx4 s[12:15], s[4:5], 0x60
	s_mul_hi_u32 s21, s33, 25
	s_mul_i32 s9, s9, 25
	s_mul_i32 s33, s33, 25
	s_add_i32 s21, s21, s9
	s_mul_i32 s4, s22, s21
	s_mul_hi_u32 s5, s22, s33
	v_cmp_lt_u64_e64 s38, s[18:19], 3
	s_mul_i32 s9, s23, s33
	s_mul_i32 s23, s10, s21
	s_mul_hi_u32 s36, s10, s33
	s_mul_i32 s37, s11, s33
	s_add_i32 s4, s5, s4
	s_add_i32 s5, s36, s23
	;; [unrolled: 1-line block ×3, first 2 shown]
	s_mul_i32 s11, s22, s33
	s_add_i32 s46, s5, s37
	s_and_b32 vcc_lo, exec_lo, s38
	s_mul_i32 s9, s10, s33
	s_cbranch_vccnz .LBB0_12
; %bb.3:
	s_add_u32 s4, s30, 16
	s_addc_u32 s5, s31, 0
	s_add_u32 s36, s2, 16
	s_addc_u32 s37, s3, 0
	;; [unrolled: 2-line block ×3, first 2 shown]
	s_mov_b64 s[38:39], 2
	s_mov_b32 s40, 0
.LBB0_4:                                ; =>This Inner Loop Header: Depth=1
	s_load_dwordx2 s[42:43], s[0:1], 0x0
	s_waitcnt lgkmcnt(0)
	s_or_b64 s[44:45], s[24:25], s[42:43]
	s_mov_b32 s41, s45
                                        ; implicit-def: $sgpr44_sgpr45
	s_cmp_lg_u64 s[40:41], 0
	s_mov_b32 s41, -1
	s_cbranch_scc0 .LBB0_6
; %bb.5:                                ;   in Loop: Header=BB0_4 Depth=1
	v_cvt_f32_u32_e32 v1, s42
	v_cvt_f32_u32_e32 v2, s43
	s_sub_u32 s45, 0, s42
	s_subb_u32 s47, 0, s43
	v_fmac_f32_e32 v1, 0x4f800000, v2
	v_rcp_f32_e32 v1, v1
	v_mul_f32_e32 v1, 0x5f7ffffc, v1
	v_mul_f32_e32 v2, 0x2f800000, v1
	v_trunc_f32_e32 v2, v2
	v_fmac_f32_e32 v1, 0xcf800000, v2
	v_cvt_u32_f32_e32 v2, v2
	v_cvt_u32_f32_e32 v1, v1
	v_readfirstlane_b32 s41, v2
	v_readfirstlane_b32 s44, v1
	s_mul_i32 s48, s45, s41
	s_mul_hi_u32 s50, s45, s44
	s_mul_i32 s49, s47, s44
	s_add_i32 s48, s50, s48
	s_mul_i32 s51, s45, s44
	s_add_i32 s48, s48, s49
	s_mul_hi_u32 s50, s44, s51
	s_mul_hi_u32 s52, s41, s51
	s_mul_i32 s49, s41, s51
	s_mul_hi_u32 s51, s44, s48
	s_mul_i32 s44, s44, s48
	s_mul_hi_u32 s53, s41, s48
	s_add_u32 s44, s50, s44
	s_addc_u32 s50, 0, s51
	s_add_u32 s44, s44, s49
	s_mul_i32 s48, s41, s48
	s_addc_u32 s44, s50, s52
	s_addc_u32 s49, s53, 0
	s_add_u32 s44, s44, s48
	s_addc_u32 s48, 0, s49
	v_add_co_u32 v1, s44, v1, s44
	s_cmp_lg_u32 s44, 0
	s_addc_u32 s41, s41, s48
	v_readfirstlane_b32 s44, v1
	s_mul_i32 s48, s45, s41
	s_mul_hi_u32 s49, s45, s44
	s_mul_i32 s47, s47, s44
	s_add_i32 s48, s49, s48
	s_mul_i32 s45, s45, s44
	s_add_i32 s48, s48, s47
	s_mul_hi_u32 s49, s41, s45
	s_mul_i32 s50, s41, s45
	s_mul_hi_u32 s45, s44, s45
	s_mul_hi_u32 s51, s44, s48
	s_mul_i32 s44, s44, s48
	s_mul_hi_u32 s47, s41, s48
	s_add_u32 s44, s45, s44
	s_addc_u32 s45, 0, s51
	s_add_u32 s44, s44, s50
	s_mul_i32 s48, s41, s48
	s_addc_u32 s44, s45, s49
	s_addc_u32 s45, s47, 0
	s_add_u32 s44, s44, s48
	s_addc_u32 s45, 0, s45
	v_add_co_u32 v1, s44, v1, s44
	s_cmp_lg_u32 s44, 0
	s_addc_u32 s41, s41, s45
	v_readfirstlane_b32 s44, v1
	s_mul_i32 s47, s24, s41
	s_mul_hi_u32 s45, s24, s41
	s_mul_hi_u32 s48, s25, s41
	s_mul_i32 s41, s25, s41
	s_mul_hi_u32 s49, s24, s44
	s_mul_hi_u32 s50, s25, s44
	s_mul_i32 s44, s25, s44
	s_add_u32 s47, s49, s47
	s_addc_u32 s45, 0, s45
	s_add_u32 s44, s47, s44
	s_addc_u32 s44, s45, s50
	s_addc_u32 s45, s48, 0
	s_add_u32 s44, s44, s41
	s_addc_u32 s45, 0, s45
	s_mul_hi_u32 s41, s42, s44
	s_mul_i32 s48, s42, s45
	s_mul_i32 s49, s42, s44
	s_add_i32 s41, s41, s48
	v_sub_co_u32 v1, s48, s24, s49
	s_mul_i32 s47, s43, s44
	s_add_i32 s41, s41, s47
	v_sub_co_u32 v2, s49, v1, s42
	s_sub_i32 s47, s25, s41
	s_cmp_lg_u32 s48, 0
	s_subb_u32 s47, s47, s43
	s_cmp_lg_u32 s49, 0
	v_readfirstlane_b32 s49, v2
	s_subb_u32 s47, s47, 0
	s_cmp_ge_u32 s47, s43
	s_cselect_b32 s50, -1, 0
	s_cmp_ge_u32 s49, s42
	s_cselect_b32 s49, -1, 0
	s_cmp_eq_u32 s47, s43
	s_cselect_b32 s47, s49, s50
	s_add_u32 s49, s44, 1
	s_addc_u32 s50, s45, 0
	s_add_u32 s51, s44, 2
	s_addc_u32 s52, s45, 0
	s_cmp_lg_u32 s47, 0
	s_cselect_b32 s47, s51, s49
	s_cselect_b32 s49, s52, s50
	s_cmp_lg_u32 s48, 0
	v_readfirstlane_b32 s48, v1
	s_subb_u32 s41, s25, s41
	s_cmp_ge_u32 s41, s43
	s_cselect_b32 s50, -1, 0
	s_cmp_ge_u32 s48, s42
	s_cselect_b32 s48, -1, 0
	s_cmp_eq_u32 s41, s43
	s_cselect_b32 s41, s48, s50
	s_cmp_lg_u32 s41, 0
	s_mov_b32 s41, 0
	s_cselect_b32 s45, s49, s45
	s_cselect_b32 s44, s47, s44
.LBB0_6:                                ;   in Loop: Header=BB0_4 Depth=1
	s_andn2_b32 vcc_lo, exec_lo, s41
	s_cbranch_vccnz .LBB0_8
; %bb.7:                                ;   in Loop: Header=BB0_4 Depth=1
	v_cvt_f32_u32_e32 v1, s42
	s_sub_i32 s44, 0, s42
	v_rcp_iflag_f32_e32 v1, v1
	v_mul_f32_e32 v1, 0x4f7ffffe, v1
	v_cvt_u32_f32_e32 v1, v1
	v_readfirstlane_b32 s41, v1
	s_mul_i32 s44, s44, s41
	s_mul_hi_u32 s44, s41, s44
	s_add_i32 s41, s41, s44
	s_mul_hi_u32 s41, s24, s41
	s_mul_i32 s44, s41, s42
	s_add_i32 s45, s41, 1
	s_sub_i32 s44, s24, s44
	s_sub_i32 s47, s44, s42
	s_cmp_ge_u32 s44, s42
	s_cselect_b32 s41, s45, s41
	s_cselect_b32 s44, s47, s44
	s_add_i32 s45, s41, 1
	s_cmp_ge_u32 s44, s42
	s_cselect_b32 s44, s45, s41
	s_mov_b32 s45, s40
.LBB0_8:                                ;   in Loop: Header=BB0_4 Depth=1
	s_load_dwordx2 s[48:49], s[36:37], 0x0
	s_load_dwordx2 s[50:51], s[4:5], 0x0
	s_mul_i32 s35, s42, s35
	s_mul_hi_u32 s41, s42, s34
	s_mul_i32 s47, s43, s34
	s_mul_i32 s43, s44, s43
	s_mul_hi_u32 s52, s44, s42
	s_mul_i32 s53, s45, s42
	s_add_i32 s35, s41, s35
	s_add_i32 s41, s52, s43
	s_mul_i32 s54, s44, s42
	s_add_i32 s35, s35, s47
	s_add_i32 s41, s41, s53
	s_sub_u32 s24, s24, s54
	s_subb_u32 s25, s25, s41
	s_mul_i32 s34, s42, s34
	s_waitcnt lgkmcnt(0)
	s_mul_i32 s41, s48, s25
	s_mul_hi_u32 s43, s48, s24
	s_mul_i32 s47, s49, s24
	s_add_i32 s41, s43, s41
	s_mul_i32 s48, s48, s24
	s_mul_i32 s25, s50, s25
	s_mul_hi_u32 s43, s50, s24
	s_add_i32 s41, s41, s47
	s_add_u32 s11, s48, s11
	s_addc_u32 s23, s41, s23
	s_add_i32 s25, s43, s25
	s_mul_i32 s41, s51, s24
	s_mul_i32 s24, s50, s24
	s_add_i32 s25, s25, s41
	s_add_u32 s9, s24, s9
	s_addc_u32 s46, s25, s46
	s_add_u32 s38, s38, 1
	s_addc_u32 s39, s39, 0
	s_add_u32 s4, s4, 8
	v_cmp_ge_u64_e64 s24, s[38:39], s[18:19]
	s_addc_u32 s5, s5, 0
	s_add_u32 s36, s36, 8
	s_addc_u32 s37, s37, 0
	s_add_u32 s0, s0, 8
	s_addc_u32 s1, s1, 0
	s_and_b32 vcc_lo, exec_lo, s24
	s_cbranch_vccnz .LBB0_10
; %bb.9:                                ;   in Loop: Header=BB0_4 Depth=1
	s_mov_b64 s[24:25], s[44:45]
	s_branch .LBB0_4
.LBB0_10:
	v_cmp_lt_u64_e64 s0, s[6:7], s[34:35]
	s_mov_b64 s[24:25], 0
	s_and_b32 vcc_lo, exec_lo, s0
	s_cbranch_vccnz .LBB0_12
; %bb.11:
	v_cvt_f32_u32_e32 v1, s34
	s_sub_i32 s1, 0, s34
	v_rcp_iflag_f32_e32 v1, v1
	v_mul_f32_e32 v1, 0x4f7ffffe, v1
	v_cvt_u32_f32_e32 v1, v1
	v_readfirstlane_b32 s0, v1
	s_mul_i32 s1, s1, s0
	s_mul_hi_u32 s1, s0, s1
	s_add_i32 s0, s0, s1
	s_mul_hi_u32 s0, s6, s0
	s_mul_i32 s1, s0, s34
	s_add_i32 s4, s0, 1
	s_sub_i32 s1, s6, s1
	s_sub_i32 s5, s1, s34
	s_cmp_ge_u32 s1, s34
	s_cselect_b32 s0, s4, s0
	s_cselect_b32 s1, s5, s1
	s_add_i32 s4, s0, 1
	s_cmp_ge_u32 s1, s34
	s_cselect_b32 s24, s4, s0
.LBB0_12:
	v_mul_u32_u24_e32 v1, 0xa3e, v0
	s_lshl_b64 s[18:19], s[18:19], 3
	s_waitcnt lgkmcnt(0)
	s_mov_b32 s4, s12
	s_add_u32 s0, s2, s18
	s_addc_u32 s1, s3, s19
	v_lshrrev_b32_e32 v44, 16, v1
	s_load_dword s2, s[0:1], 0x0
	v_cmp_gt_u32_e64 s1, 0x7d, v0
	s_mov_b32 s5, s13
	v_cmp_lt_u32_e64 s0, 0x7c, v0
	v_mul_lo_u16 v1, v44, 25
	v_add_nc_u32_e32 v4, 5, v44
	v_cndmask_b32_e64 v2, 0, 1, s1
	v_mul_lo_u32 v3, s20, v44
	v_add_nc_u32_e32 v5, 10, v44
	v_sub_nc_u16 v1, v0, v1
	v_mul_lo_u32 v4, s20, v4
	v_add_nc_u32_e32 v6, 20, v44
	v_add_nc_u32_e32 v7, 25, v44
	v_mul_lo_u32 v5, s20, v5
	v_and_b32_e32 v43, 0xffff, v1
	v_add_nc_u32_e32 v1, 15, v44
	v_mul_lo_u32 v6, s20, v6
	v_add_nc_u32_e32 v9, 30, v44
	v_add_nc_u32_e32 v10, 35, v44
	v_add_co_u32 v41, s3, s33, v43
	s_waitcnt lgkmcnt(0)
	s_mul_i32 s2, s2, s24
	v_add_co_ci_u32_e64 v42, null, s21, 0, s3
	s_add_i32 s23, s2, s11
	s_add_u32 s2, s30, s18
	s_addc_u32 s3, s31, s19
	s_add_u32 s12, s33, 25
	v_cmp_gt_u64_e32 vcc_lo, s[28:29], v[41:42]
	s_addc_u32 s13, s21, 0
	v_mul_lo_u32 v11, s22, v43
	v_cmp_le_u64_e64 s11, s[12:13], s[28:29]
	v_mul_lo_u32 v1, s20, v1
	s_mov_b32 s7, 0x31014000
	v_cndmask_b32_e64 v8, 0, 1, vcc_lo
	s_mov_b32 s6, -2
	v_add_nc_u32_e32 v12, 45, v44
	s_or_b32 s0, s0, s11
	v_add_lshl_u32 v3, v11, v3, 4
	v_cndmask_b32_e64 v2, v8, v2, s0
	v_add_lshl_u32 v4, v11, v4, 4
	v_add_nc_u32_e32 v8, 40, v44
	s_lshl_b32 s12, s23, 4
	v_add_lshl_u32 v1, v11, v1, 4
	v_and_b32_e32 v2, 1, v2
	v_lshlrev_b32_e32 v42, 4, v43
	v_cmp_eq_u32_e64 s0, 1, v2
	v_add_lshl_u32 v2, v11, v5, 4
	v_add_lshl_u32 v5, v11, v6, 4
	v_mul_lo_u32 v6, s20, v10
	v_cndmask_b32_e64 v3, -1, v3, s0
	v_cndmask_b32_e64 v4, -1, v4, s0
	;; [unrolled: 1-line block ×3, first 2 shown]
	s_clause 0x1
	buffer_load_dwordx4 v[21:24], v3, s[4:7], s12 offen
	buffer_load_dwordx4 v[25:28], v4, s[4:7], s12 offen
	v_mul_lo_u32 v3, s20, v7
	v_mul_lo_u32 v4, s20, v9
	;; [unrolled: 1-line block ×4, first 2 shown]
	v_cndmask_b32_e64 v1, -1, v1, s0
	s_clause 0x1
	buffer_load_dwordx4 v[13:16], v2, s[4:7], s12 offen
	buffer_load_dwordx4 v[29:32], v1, s[4:7], s12 offen
	v_add_lshl_u32 v2, v11, v3, 4
	v_add_lshl_u32 v3, v11, v4, 4
	;; [unrolled: 1-line block ×3, first 2 shown]
	v_cndmask_b32_e64 v1, -1, v5, s0
	v_add_lshl_u32 v5, v11, v7, 4
	v_add_lshl_u32 v6, v11, v8, 4
	v_cndmask_b32_e64 v2, -1, v2, s0
	v_cndmask_b32_e64 v3, -1, v3, s0
	;; [unrolled: 1-line block ×5, first 2 shown]
	s_clause 0x5
	buffer_load_dwordx4 v[17:20], v1, s[4:7], s12 offen
	buffer_load_dwordx4 v[37:40], v2, s[4:7], s12 offen
	;; [unrolled: 1-line block ×6, first 2 shown]
	s_load_dwordx2 s[2:3], s[2:3], 0x0
	s_waitcnt lgkmcnt(0)
	s_and_saveexec_b32 s3, s1
	s_cbranch_execz .LBB0_14
; %bb.13:
	s_waitcnt vmcnt(6)
	v_add_f64 v[47:48], v[25:26], v[29:30]
	v_add_f64 v[45:46], v[27:28], v[31:32]
	s_waitcnt vmcnt(2)
	v_add_f64 v[49:50], v[37:38], v[33:34]
	v_add_f64 v[51:52], v[39:40], v[35:36]
	;; [unrolled: 3-line block ×3, first 2 shown]
	v_add_f64 v[57:58], v[29:30], -v[37:38]
	v_add_f64 v[63:64], v[37:38], -v[33:34]
	;; [unrolled: 1-line block ×6, first 2 shown]
	s_mov_b32 s0, 0x134454ff
	s_mov_b32 s1, 0x3fee6f0e
	;; [unrolled: 1-line block ×10, first 2 shown]
	v_add_f64 v[47:48], v[47:48], v[37:38]
	v_add_f64 v[45:46], v[45:46], v[39:40]
	v_fma_f64 v[49:50], v[49:50], -0.5, v[25:26]
	v_fma_f64 v[51:52], v[51:52], -0.5, v[27:28]
	;; [unrolled: 1-line block ×4, first 2 shown]
	v_add_f64 v[37:38], v[37:38], -v[29:30]
	v_add_f64 v[27:28], v[5:6], -v[33:34]
	;; [unrolled: 1-line block ×4, first 2 shown]
	s_mov_b32 s22, 0x9b97f4a8
	s_mov_b32 s23, 0x3fe9e377
	v_add_f64 v[29:30], v[47:48], v[33:34]
	v_add_f64 v[47:48], v[3:4], -v[11:12]
	v_add_f64 v[31:32], v[45:46], v[35:36]
	v_add_f64 v[45:46], v[7:8], -v[35:36]
	v_add_f64 v[33:34], v[33:34], -v[5:6]
	;; [unrolled: 1-line block ×3, first 2 shown]
	v_fma_f64 v[69:70], v[63:64], s[12:13], v[55:56]
	v_fma_f64 v[55:56], v[63:64], s[0:1], v[55:56]
	;; [unrolled: 1-line block ×6, first 2 shown]
	v_add_f64 v[5:6], v[29:30], v[5:6]
	v_add_f64 v[25:26], v[25:26], v[47:48]
	;; [unrolled: 1-line block ×3, first 2 shown]
	v_add_f64 v[27:28], v[19:20], -v[15:16]
	v_add_f64 v[57:58], v[11:12], -v[3:4]
	v_add_f64 v[45:46], v[61:62], v[45:46]
	v_add_f64 v[33:34], v[37:38], v[33:34]
	;; [unrolled: 1-line block ×6, first 2 shown]
	v_fma_f64 v[69:70], v[67:68], s[4:5], v[69:70]
	v_fma_f64 v[55:56], v[67:68], s[18:19], v[55:56]
	;; [unrolled: 1-line block ×6, first 2 shown]
	v_add_f64 v[7:8], v[31:32], v[7:8]
	v_add_f64 v[27:28], v[27:28], v[57:58]
	v_add_f64 v[57:58], v[17:18], v[9:10]
	v_fma_f64 v[37:38], v[37:38], -0.5, v[23:24]
	v_fma_f64 v[39:40], v[39:40], -0.5, v[23:24]
	;; [unrolled: 1-line block ×3, first 2 shown]
	v_add_f64 v[23:24], v[23:24], v[15:16]
	v_add_f64 v[15:16], v[15:16], -v[3:4]
	v_fma_f64 v[67:68], v[65:66], s[18:19], v[67:68]
	v_fma_f64 v[53:54], v[65:66], s[4:5], v[53:54]
	;; [unrolled: 1-line block ×4, first 2 shown]
	v_add_f64 v[59:60], v[13:14], -v[1:2]
	v_add_f64 v[71:72], v[13:14], -v[17:18]
	v_fma_f64 v[57:58], v[57:58], -0.5, v[21:22]
	v_add_f64 v[21:22], v[21:22], v[13:14]
	v_add_f64 v[13:14], v[17:18], -v[13:14]
	v_add_f64 v[23:24], v[23:24], v[19:20]
	v_add_f64 v[19:20], v[19:20], -v[11:12]
	v_fma_f64 v[75:76], v[59:60], s[0:1], v[37:38]
	v_fma_f64 v[37:38], v[59:60], s[12:13], v[37:38]
	v_add_f64 v[21:22], v[21:22], v[17:18]
	v_add_f64 v[17:18], v[17:18], -v[9:10]
	v_add_f64 v[11:12], v[23:24], v[11:12]
	v_add_f64 v[23:24], v[1:2], -v[9:10]
	;; [unrolled: 2-line block ×3, first 2 shown]
	v_fma_f64 v[73:74], v[17:18], s[12:13], v[39:40]
	v_fma_f64 v[39:40], v[17:18], s[0:1], v[39:40]
	v_add_f64 v[11:12], v[11:12], v[3:4]
	v_add_f64 v[23:24], v[71:72], v[23:24]
	;; [unrolled: 1-line block ×4, first 2 shown]
	v_fma_f64 v[73:74], v[59:60], s[4:5], v[73:74]
	v_fma_f64 v[39:40], v[59:60], s[18:19], v[39:40]
	;; [unrolled: 1-line block ×17, first 2 shown]
	v_mul_f64 v[1:2], v[59:60], s[20:21]
	v_mul_f64 v[3:4], v[33:34], s[12:13]
	v_fma_f64 v[29:30], v[25:26], s[20:21], v[53:54]
	v_fma_f64 v[53:54], v[27:28], s[20:21], v[73:74]
	;; [unrolled: 1-line block ×3, first 2 shown]
	v_mul_f64 v[27:28], v[45:46], s[4:5]
	v_mul_f64 v[25:26], v[55:56], s[20:21]
	;; [unrolled: 1-line block ×3, first 2 shown]
	v_fma_f64 v[13:14], v[15:16], s[18:19], v[13:14]
	v_fma_f64 v[15:16], v[15:16], s[4:5], v[49:50]
	v_fma_f64 v[49:50], v[19:20], s[18:19], v[61:62]
	v_fma_f64 v[19:20], v[19:20], s[4:5], v[57:58]
	v_mul_f64 v[57:58], v[37:38], s[22:23]
	v_mul_f64 v[61:62], v[35:36], s[0:1]
	v_fma_f64 v[55:56], v[55:56], s[12:13], -v[1:2]
	v_add_f64 v[1:2], v[21:22], -v[5:6]
	v_add_f64 v[5:6], v[21:22], v[5:6]
	v_fma_f64 v[35:36], v[35:36], s[20:21], v[3:4]
	v_add_f64 v[3:4], v[11:12], -v[7:8]
	v_add_f64 v[7:8], v[11:12], v[7:8]
	v_fma_f64 v[47:48], v[47:48], s[22:23], v[27:28]
	v_fma_f64 v[59:60], v[59:60], s[0:1], -v[25:26]
	v_fma_f64 v[45:46], v[45:46], s[22:23], v[31:32]
	v_fma_f64 v[13:14], v[9:10], s[20:21], v[13:14]
	;; [unrolled: 1-line block ×5, first 2 shown]
	v_fma_f64 v[57:58], v[51:52], s[18:19], -v[57:58]
	v_mul_f64 v[51:52], v[51:52], s[22:23]
	v_fma_f64 v[61:62], v[33:34], s[20:21], v[61:62]
	v_add_f64 v[31:32], v[53:54], v[55:56]
	v_add_f64 v[15:16], v[53:54], -v[55:56]
	v_add_f64 v[19:20], v[39:40], -v[35:36]
	v_add_f64 v[35:36], v[39:40], v[35:36]
	v_add_f64 v[39:40], v[17:18], v[45:46]
	v_add_f64 v[23:24], v[17:18], -v[45:46]
	v_mul_u32_u24_e32 v45, 0xfa0, v44
	v_add_f64 v[21:22], v[63:64], -v[47:48]
	v_add_f64 v[11:12], v[29:30], -v[57:58]
	v_fma_f64 v[51:52], v[37:38], s[4:5], -v[51:52]
	v_add_f64 v[37:38], v[63:64], v[47:48]
	v_add_f64 v[33:34], v[9:10], v[61:62]
	;; [unrolled: 1-line block ×4, first 2 shown]
	v_add_f64 v[17:18], v[9:10], -v[61:62]
	v_add_f64 v[13:14], v[13:14], -v[59:60]
	v_add3_u32 v45, 0, v45, v42
	v_add_f64 v[25:26], v[49:50], v[51:52]
	v_add_f64 v[9:10], v[49:50], -v[51:52]
	ds_write_b128 v45, v[5:8]
	ds_write_b128 v45, v[1:4] offset:2000
	ds_write_b128 v45, v[37:40] offset:400
	;; [unrolled: 1-line block ×9, first 2 shown]
.LBB0_14:
	s_or_b32 exec_lo, exec_lo, s3
	s_waitcnt vmcnt(1)
	v_mul_lo_u16 v1, v44, 26
	s_waitcnt vmcnt(0) lgkmcnt(0)
	s_barrier
	buffer_gl0_inv
	v_mov_b32_e32 v40, 4
	v_lshrrev_b16 v1, 8, v1
	s_mov_b32 s0, 0x134454ff
	s_mov_b32 s1, 0x3fee6f0e
	;; [unrolled: 1-line block ×4, first 2 shown]
	v_mul_lo_u16 v1, v1, 10
	s_mov_b32 s12, 0x4755a5e
	s_mov_b32 s13, 0x3fe2cf23
	;; [unrolled: 1-line block ×4, first 2 shown]
	v_sub_nc_u16 v1, v44, v1
	s_or_b32 vcc_lo, s11, vcc_lo
	v_and_b32_e32 v1, 0xff, v1
	v_lshlrev_b32_e32 v14, 6, v1
	v_mul_lo_u32 v70, v41, v1
	v_add_nc_u32_e32 v26, 10, v1
	v_add_nc_u32_e32 v38, 20, v1
	;; [unrolled: 1-line block ×3, first 2 shown]
	s_clause 0x3
	global_load_dwordx4 v[2:5], v14, s[26:27]
	global_load_dwordx4 v[6:9], v14, s[26:27] offset:16
	global_load_dwordx4 v[10:13], v14, s[26:27] offset:32
	;; [unrolled: 1-line block ×3, first 2 shown]
	v_mul_lo_u32 v71, v41, v26
	v_mul_u32_u24_e32 v26, 0x190, v44
	v_bfe_u32 v18, v70, 8, 8
	v_lshlrev_b32_sdwa v19, v40, v70 dst_sel:DWORD dst_unused:UNUSED_PAD src0_sel:DWORD src1_sel:BYTE_0
	v_mul_lo_u32 v74, v41, v38
	v_mul_lo_u32 v75, v41, v66
	v_add3_u32 v42, 0, v26, v42
	v_lshl_or_b32 v22, v18, 4, 0x1000
	v_bfe_u32 v30, v71, 8, 8
	v_lshlrev_b32_sdwa v31, v40, v71 dst_sel:DWORD dst_unused:UNUSED_PAD src0_sel:DWORD src1_sel:BYTE_0
	s_clause 0x1
	global_load_dwordx4 v[18:21], v19, s[16:17]
	global_load_dwordx4 v[22:25], v22, s[16:17]
	ds_read_b128 v[26:29], v42 offset:4000
	v_lshl_or_b32 v34, v30, 4, 0x1000
	v_bfe_u32 v52, v74, 8, 8
	s_clause 0x1
	global_load_dwordx4 v[30:33], v31, s[16:17]
	global_load_dwordx4 v[34:37], v34, s[16:17]
	ds_read_b128 v[44:47], v42 offset:8000
	ds_read_b128 v[48:51], v42
	v_lshlrev_b32_sdwa v56, v40, v74 dst_sel:DWORD dst_unused:UNUSED_PAD src0_sel:DWORD src1_sel:BYTE_0
	v_lshl_or_b32 v60, v52, 4, 0x1000
	ds_read_b128 v[52:55], v42 offset:12000
	s_clause 0x1
	global_load_dwordx4 v[56:59], v56, s[16:17]
	global_load_dwordx4 v[60:63], v60, s[16:17]
	v_bfe_u32 v72, v75, 8, 8
	s_waitcnt vmcnt(9) lgkmcnt(3)
	v_mul_f64 v[38:39], v[28:29], v[4:5]
	v_mul_f64 v[4:5], v[26:27], v[4:5]
	s_waitcnt vmcnt(8) lgkmcnt(2)
	v_mul_f64 v[64:65], v[46:47], v[8:9]
	v_mul_f64 v[8:9], v[44:45], v[8:9]
	v_fma_f64 v[66:67], v[26:27], v[2:3], -v[38:39]
	v_fma_f64 v[68:69], v[28:29], v[2:3], v[4:5]
	v_add_nc_u32_e32 v2, 40, v1
	v_lshlrev_b32_sdwa v3, v40, v75 dst_sel:DWORD dst_unused:UNUSED_PAD src0_sel:DWORD src1_sel:BYTE_0
	v_lshl_or_b32 v28, v72, 4, 0x1000
	s_waitcnt vmcnt(7) lgkmcnt(0)
	v_mul_f64 v[26:27], v[54:55], v[12:13]
	v_mul_f64 v[12:13], v[52:53], v[12:13]
	v_mul_lo_u32 v78, v41, v2
	global_load_dwordx4 v[2:5], v3, s[16:17]
	v_fma_f64 v[44:45], v[44:45], v[6:7], -v[64:65]
	v_fma_f64 v[46:47], v[46:47], v[6:7], v[8:9]
	global_load_dwordx4 v[6:9], v28, s[16:17]
	v_bfe_u32 v28, v78, 8, 8
	v_lshlrev_b32_sdwa v29, v40, v78 dst_sel:DWORD dst_unused:UNUSED_PAD src0_sel:DWORD src1_sel:BYTE_0
	v_lshl_or_b32 v28, v28, 4, 0x1000
	v_fma_f64 v[52:53], v[52:53], v[10:11], -v[26:27]
	v_fma_f64 v[54:55], v[54:55], v[10:11], v[12:13]
	s_clause 0x1
	global_load_dwordx4 v[10:13], v29, s[16:17]
	global_load_dwordx4 v[26:29], v28, s[16:17]
	ds_read_b128 v[38:41], v42 offset:16000
	s_waitcnt vmcnt(10) lgkmcnt(0)
	v_mul_f64 v[64:65], v[40:41], v[16:17]
	v_mul_f64 v[16:17], v[38:39], v[16:17]
	v_fma_f64 v[38:39], v[38:39], v[14:15], -v[64:65]
	s_waitcnt vmcnt(8)
	v_mul_f64 v[64:65], v[20:21], v[24:25]
	v_mul_f64 v[24:25], v[18:19], v[24:25]
	v_fma_f64 v[40:41], v[40:41], v[14:15], v[16:17]
	v_bfe_u32 v14, v70, 16, 8
	v_bfe_u32 v15, v71, 16, 8
	v_lshl_or_b32 v14, v14, 4, 0x2000
	v_lshl_or_b32 v42, v15, 4, 0x2000
	global_load_dwordx4 v[14:17], v14, s[16:17]
	v_fma_f64 v[64:65], v[18:19], v[22:23], -v[64:65]
	v_fma_f64 v[70:71], v[20:21], v[22:23], v[24:25]
	global_load_dwordx4 v[18:21], v42, s[16:17]
	s_waitcnt vmcnt(8)
	v_mul_f64 v[22:23], v[32:33], v[36:37]
	v_mul_f64 v[24:25], v[30:31], v[36:37]
	s_waitcnt vmcnt(6)
	v_mul_f64 v[36:37], v[58:59], v[62:63]
	v_mul_f64 v[62:63], v[56:57], v[62:63]
	v_bfe_u32 v42, v78, 16, 8
	v_lshl_or_b32 v42, v42, 4, 0x2000
	v_fma_f64 v[72:73], v[30:31], v[34:35], -v[22:23]
	v_bfe_u32 v22, v75, 16, 8
	v_fma_f64 v[36:37], v[56:57], v[60:61], -v[36:37]
	v_fma_f64 v[56:57], v[58:59], v[60:61], v[62:63]
	v_add_f64 v[62:63], v[68:69], v[40:41]
	v_bfe_u32 v23, v74, 16, 8
	v_add_f64 v[74:75], v[38:39], -v[52:53]
	v_lshl_or_b32 v22, v22, 4, 0x2000
	v_fma_f64 v[34:35], v[32:33], v[34:35], v[24:25]
	v_lshl_or_b32 v30, v23, 4, 0x2000
	s_clause 0x1
	global_load_dwordx4 v[22:25], v22, s[16:17]
	global_load_dwordx4 v[30:33], v30, s[16:17]
	s_waitcnt vmcnt(6)
	v_mul_f64 v[58:59], v[4:5], v[8:9]
	v_mul_f64 v[8:9], v[2:3], v[8:9]
	s_waitcnt vmcnt(4)
	v_mul_f64 v[60:61], v[12:13], v[28:29]
	v_mul_f64 v[28:29], v[10:11], v[28:29]
	v_fma_f64 v[58:59], v[2:3], v[6:7], -v[58:59]
	v_fma_f64 v[6:7], v[4:5], v[6:7], v[8:9]
	v_add_f64 v[2:3], v[44:45], v[52:53]
	v_add_f64 v[4:5], v[66:67], v[38:39]
	;; [unrolled: 1-line block ×3, first 2 shown]
	v_fma_f64 v[10:11], v[10:11], v[26:27], -v[60:61]
	v_fma_f64 v[12:13], v[12:13], v[26:27], v[28:29]
	v_add_f64 v[26:27], v[48:49], v[66:67]
	v_add_f64 v[28:29], v[50:51], v[68:69]
	v_add_f64 v[60:61], v[66:67], -v[44:45]
	v_fma_f64 v[2:3], v[2:3], -0.5, v[48:49]
	v_fma_f64 v[4:5], v[4:5], -0.5, v[48:49]
	;; [unrolled: 1-line block ×4, first 2 shown]
	v_add_f64 v[50:51], v[44:45], -v[66:67]
	v_add_f64 v[62:63], v[52:53], -v[38:39]
	v_add_f64 v[66:67], v[66:67], -v[38:39]
	v_add_f64 v[26:27], v[26:27], v[44:45]
	v_add_f64 v[44:45], v[44:45], -v[52:53]
	v_add_f64 v[60:61], v[60:61], v[74:75]
	v_add_f64 v[74:75], v[68:69], -v[46:47]
	v_add_f64 v[28:29], v[28:29], v[46:47]
	v_add_f64 v[50:51], v[50:51], v[62:63]
	v_add_f64 v[62:63], v[40:41], -v[54:55]
	v_add_f64 v[26:27], v[26:27], v[52:53]
	v_add_f64 v[52:53], v[54:55], -v[40:41]
	v_add_f64 v[28:29], v[28:29], v[54:55]
	v_add_f64 v[62:63], v[74:75], v[62:63]
	v_add_f64 v[74:75], v[46:47], -v[68:69]
	v_add_f64 v[46:47], v[46:47], -v[54:55]
	;; [unrolled: 1-line block ×3, first 2 shown]
	v_fma_f64 v[54:55], v[66:67], s[4:5], v[8:9]
	v_fma_f64 v[8:9], v[66:67], s[0:1], v[8:9]
	v_add_f64 v[26:27], v[26:27], v[38:39]
	v_add_f64 v[28:29], v[28:29], v[40:41]
	s_waitcnt vmcnt(2)
	v_mul_f64 v[40:41], v[72:73], v[20:21]
	v_mul_f64 v[20:21], v[34:35], v[20:21]
	v_add_f64 v[52:53], v[74:75], v[52:53]
	v_fma_f64 v[74:75], v[46:47], s[4:5], v[4:5]
	v_fma_f64 v[4:5], v[46:47], s[0:1], v[4:5]
	;; [unrolled: 1-line block ×6, first 2 shown]
	s_mov_b32 s0, 0x372fe950
	s_mov_b32 s1, 0x3fd3c6ef
	v_fma_f64 v[40:41], v[18:19], v[34:35], v[40:41]
	v_fma_f64 v[74:75], v[68:69], s[12:13], v[74:75]
	;; [unrolled: 1-line block ×8, first 2 shown]
	s_mov_b32 s4, s14
	s_mov_b32 s5, s15
	v_fma_f64 v[74:75], v[50:51], s[0:1], v[74:75]
	v_fma_f64 v[50:51], v[50:51], s[0:1], v[68:69]
	;; [unrolled: 1-line block ×3, first 2 shown]
	global_load_dwordx4 v[2:5], v42, s[16:17]
	v_mul_f64 v[66:67], v[64:65], v[16:17]
	v_fma_f64 v[48:49], v[62:63], s[0:1], v[48:49]
	v_fma_f64 v[62:63], v[62:63], s[0:1], v[8:9]
	s_waitcnt vmcnt(2)
	v_mul_f64 v[8:9], v[58:59], v[24:25]
	v_fma_f64 v[44:45], v[52:53], s[0:1], v[44:45]
	s_waitcnt vmcnt(1)
	v_mul_f64 v[68:69], v[36:37], v[32:33]
	v_mul_f64 v[16:17], v[70:71], v[16:17]
	v_mul_f64 v[32:33], v[56:57], v[32:33]
	v_mov_b32_e32 v42, 0x107
	v_mul_u32_u24_sdwa v0, v0, v42 dst_sel:DWORD dst_unused:UNUSED_PAD src0_sel:WORD_0 src1_sel:DWORD
	v_mul_lo_u32 v42, s10, v43
	v_lshrrev_b32_e32 v0, 16, v0
	v_fma_f64 v[52:53], v[52:53], s[0:1], v[54:55]
	v_fma_f64 v[66:67], v[14:15], v[70:71], v[66:67]
	v_mul_lo_u16 v0, v0, 50
	v_fma_f64 v[8:9], v[22:23], v[6:7], v[8:9]
	v_mul_f64 v[6:7], v[6:7], v[24:25]
	v_fma_f64 v[34:35], v[30:31], v[56:57], v[68:69]
	v_fma_f64 v[14:15], v[14:15], v[64:65], -v[16:17]
	v_fma_f64 v[16:17], v[18:19], v[72:73], -v[20:21]
	;; [unrolled: 1-line block ×3, first 2 shown]
	v_add_nc_u32_sdwa v0, v1, v0 dst_sel:DWORD dst_unused:UNUSED_PAD src0_sel:DWORD src1_sel:WORD_0
	v_add_nc_u32_e32 v1, 10, v0
	v_mul_lo_u32 v43, s8, v0
	v_mul_f64 v[36:37], v[50:51], v[8:9]
	v_fma_f64 v[20:21], v[22:23], v[58:59], -v[6:7]
	v_mul_f64 v[6:7], v[48:49], v[40:41]
	v_mul_f64 v[30:31], v[44:45], v[34:35]
	;; [unrolled: 1-line block ×4, first 2 shown]
	v_fma_f64 v[8:9], v[74:75], v[18:19], -v[30:31]
	s_waitcnt vmcnt(0)
	v_mul_f64 v[54:55], v[10:11], v[4:5]
	v_mul_f64 v[4:5], v[12:13], v[4:5]
	v_fma_f64 v[24:25], v[2:3], v[12:13], v[54:55]
	v_fma_f64 v[12:13], v[60:61], s[0:1], v[38:39]
	;; [unrolled: 1-line block ×3, first 2 shown]
	v_fma_f64 v[22:23], v[2:3], v[10:11], -v[4:5]
	v_mul_f64 v[2:3], v[28:29], v[66:67]
	v_mul_f64 v[4:5], v[26:27], v[66:67]
	v_add_nc_u32_e32 v46, 20, v0
	v_add_nc_u32_e32 v47, 30, v0
	;; [unrolled: 1-line block ×3, first 2 shown]
	v_mul_lo_u32 v55, s8, v1
	s_mul_i32 s0, s2, s24
	s_add_i32 s0, s0, s9
	s_lshl_b32 s0, s0, 4
	v_mul_f64 v[10:11], v[12:13], v[40:41]
	v_mul_f64 v[40:41], v[62:63], v[24:25]
	;; [unrolled: 1-line block ×3, first 2 shown]
	v_fma_f64 v[0:1], v[26:27], v[14:15], -v[2:3]
	v_fma_f64 v[2:3], v[28:29], v[14:15], v[4:5]
	v_fma_f64 v[4:5], v[12:13], v[16:17], -v[6:7]
	v_fma_f64 v[12:13], v[50:51], v[20:21], -v[34:35]
	v_fma_f64 v[14:15], v[52:53], v[20:21], v[36:37]
	v_mul_lo_u32 v20, s8, v46
	v_mul_lo_u32 v21, s8, v47
	v_add_lshl_u32 v20, v42, v20, 4
	v_add_lshl_u32 v21, v42, v21, 4
	v_cndmask_b32_e32 v20, -1, v20, vcc_lo
	v_fma_f64 v[6:7], v[48:49], v[16:17], v[10:11]
	v_fma_f64 v[10:11], v[44:45], v[18:19], v[32:33]
	v_fma_f64 v[16:17], v[38:39], v[22:23], -v[40:41]
	v_fma_f64 v[18:19], v[62:63], v[22:23], v[24:25]
	v_mul_lo_u32 v22, s8, v54
	v_add_lshl_u32 v23, v42, v43, 4
	v_add_lshl_u32 v24, v42, v55, 4
	v_cndmask_b32_e32 v21, -1, v21, vcc_lo
	v_cndmask_b32_e32 v23, -1, v23, vcc_lo
	;; [unrolled: 1-line block ×3, first 2 shown]
	v_add_lshl_u32 v22, v42, v22, 4
	v_cndmask_b32_e32 v22, -1, v22, vcc_lo
	buffer_store_dwordx4 v[0:3], v23, s[4:7], s0 offen
	buffer_store_dwordx4 v[4:7], v24, s[4:7], s0 offen
	;; [unrolled: 1-line block ×5, first 2 shown]
	s_endpgm
	.section	.rodata,"a",@progbits
	.p2align	6, 0x0
	.amdhsa_kernel fft_rtc_fwd_len50_factors_10_5_wgs_250_tpt_10_dp_op_CI_CI_sbcc_twdbase8_3step_dirReg_intrinsicReadWrite
		.amdhsa_group_segment_fixed_size 0
		.amdhsa_private_segment_fixed_size 0
		.amdhsa_kernarg_size 112
		.amdhsa_user_sgpr_count 6
		.amdhsa_user_sgpr_private_segment_buffer 1
		.amdhsa_user_sgpr_dispatch_ptr 0
		.amdhsa_user_sgpr_queue_ptr 0
		.amdhsa_user_sgpr_kernarg_segment_ptr 1
		.amdhsa_user_sgpr_dispatch_id 0
		.amdhsa_user_sgpr_flat_scratch_init 0
		.amdhsa_user_sgpr_private_segment_size 0
		.amdhsa_wavefront_size32 1
		.amdhsa_uses_dynamic_stack 0
		.amdhsa_system_sgpr_private_segment_wavefront_offset 0
		.amdhsa_system_sgpr_workgroup_id_x 1
		.amdhsa_system_sgpr_workgroup_id_y 0
		.amdhsa_system_sgpr_workgroup_id_z 0
		.amdhsa_system_sgpr_workgroup_info 0
		.amdhsa_system_vgpr_workitem_id 0
		.amdhsa_next_free_vgpr 79
		.amdhsa_next_free_sgpr 55
		.amdhsa_reserve_vcc 1
		.amdhsa_reserve_flat_scratch 0
		.amdhsa_float_round_mode_32 0
		.amdhsa_float_round_mode_16_64 0
		.amdhsa_float_denorm_mode_32 3
		.amdhsa_float_denorm_mode_16_64 3
		.amdhsa_dx10_clamp 1
		.amdhsa_ieee_mode 1
		.amdhsa_fp16_overflow 0
		.amdhsa_workgroup_processor_mode 1
		.amdhsa_memory_ordered 1
		.amdhsa_forward_progress 0
		.amdhsa_shared_vgpr_count 0
		.amdhsa_exception_fp_ieee_invalid_op 0
		.amdhsa_exception_fp_denorm_src 0
		.amdhsa_exception_fp_ieee_div_zero 0
		.amdhsa_exception_fp_ieee_overflow 0
		.amdhsa_exception_fp_ieee_underflow 0
		.amdhsa_exception_fp_ieee_inexact 0
		.amdhsa_exception_int_div_zero 0
	.end_amdhsa_kernel
	.text
.Lfunc_end0:
	.size	fft_rtc_fwd_len50_factors_10_5_wgs_250_tpt_10_dp_op_CI_CI_sbcc_twdbase8_3step_dirReg_intrinsicReadWrite, .Lfunc_end0-fft_rtc_fwd_len50_factors_10_5_wgs_250_tpt_10_dp_op_CI_CI_sbcc_twdbase8_3step_dirReg_intrinsicReadWrite
                                        ; -- End function
	.section	.AMDGPU.csdata,"",@progbits
; Kernel info:
; codeLenInByte = 5576
; NumSgprs: 57
; NumVgprs: 79
; ScratchSize: 0
; MemoryBound: 0
; FloatMode: 240
; IeeeMode: 1
; LDSByteSize: 0 bytes/workgroup (compile time only)
; SGPRBlocks: 7
; VGPRBlocks: 9
; NumSGPRsForWavesPerEU: 57
; NumVGPRsForWavesPerEU: 79
; Occupancy: 12
; WaveLimiterHint : 0
; COMPUTE_PGM_RSRC2:SCRATCH_EN: 0
; COMPUTE_PGM_RSRC2:USER_SGPR: 6
; COMPUTE_PGM_RSRC2:TRAP_HANDLER: 0
; COMPUTE_PGM_RSRC2:TGID_X_EN: 1
; COMPUTE_PGM_RSRC2:TGID_Y_EN: 0
; COMPUTE_PGM_RSRC2:TGID_Z_EN: 0
; COMPUTE_PGM_RSRC2:TIDIG_COMP_CNT: 0
	.text
	.p2alignl 6, 3214868480
	.fill 48, 4, 3214868480
	.type	__hip_cuid_7240d504d17ee1d,@object ; @__hip_cuid_7240d504d17ee1d
	.section	.bss,"aw",@nobits
	.globl	__hip_cuid_7240d504d17ee1d
__hip_cuid_7240d504d17ee1d:
	.byte	0                               ; 0x0
	.size	__hip_cuid_7240d504d17ee1d, 1

	.ident	"AMD clang version 19.0.0git (https://github.com/RadeonOpenCompute/llvm-project roc-6.4.0 25133 c7fe45cf4b819c5991fe208aaa96edf142730f1d)"
	.section	".note.GNU-stack","",@progbits
	.addrsig
	.addrsig_sym __hip_cuid_7240d504d17ee1d
	.amdgpu_metadata
---
amdhsa.kernels:
  - .args:
      - .actual_access:  read_only
        .address_space:  global
        .offset:         0
        .size:           8
        .value_kind:     global_buffer
      - .address_space:  global
        .offset:         8
        .size:           8
        .value_kind:     global_buffer
      - .offset:         16
        .size:           8
        .value_kind:     by_value
      - .actual_access:  read_only
        .address_space:  global
        .offset:         24
        .size:           8
        .value_kind:     global_buffer
      - .actual_access:  read_only
        .address_space:  global
        .offset:         32
        .size:           8
        .value_kind:     global_buffer
      - .actual_access:  read_only
        .address_space:  global
        .offset:         40
        .size:           8
        .value_kind:     global_buffer
      - .offset:         48
        .size:           8
        .value_kind:     by_value
      - .actual_access:  read_only
        .address_space:  global
        .offset:         56
        .size:           8
        .value_kind:     global_buffer
      - .actual_access:  read_only
        .address_space:  global
        .offset:         64
        .size:           8
        .value_kind:     global_buffer
      - .offset:         72
        .size:           4
        .value_kind:     by_value
      - .actual_access:  read_only
        .address_space:  global
        .offset:         80
        .size:           8
        .value_kind:     global_buffer
      - .actual_access:  read_only
        .address_space:  global
        .offset:         88
        .size:           8
        .value_kind:     global_buffer
      - .address_space:  global
        .offset:         96
        .size:           8
        .value_kind:     global_buffer
      - .address_space:  global
        .offset:         104
        .size:           8
        .value_kind:     global_buffer
    .group_segment_fixed_size: 0
    .kernarg_segment_align: 8
    .kernarg_segment_size: 112
    .language:       OpenCL C
    .language_version:
      - 2
      - 0
    .max_flat_workgroup_size: 250
    .name:           fft_rtc_fwd_len50_factors_10_5_wgs_250_tpt_10_dp_op_CI_CI_sbcc_twdbase8_3step_dirReg_intrinsicReadWrite
    .private_segment_fixed_size: 0
    .sgpr_count:     57
    .sgpr_spill_count: 0
    .symbol:         fft_rtc_fwd_len50_factors_10_5_wgs_250_tpt_10_dp_op_CI_CI_sbcc_twdbase8_3step_dirReg_intrinsicReadWrite.kd
    .uniform_work_group_size: 1
    .uses_dynamic_stack: false
    .vgpr_count:     79
    .vgpr_spill_count: 0
    .wavefront_size: 32
    .workgroup_processor_mode: 1
amdhsa.target:   amdgcn-amd-amdhsa--gfx1030
amdhsa.version:
  - 1
  - 2
...

	.end_amdgpu_metadata
